;; amdgpu-corpus repo=ROCm/rocFFT kind=compiled arch=gfx950 opt=O3
	.text
	.amdgcn_target "amdgcn-amd-amdhsa--gfx950"
	.amdhsa_code_object_version 6
	.protected	fft_rtc_back_len192_factors_2_2_3_4_4_wgs_256_tpt_16_dim2_sp_ip_CI_sbcc_twdbase8_3step_dirReg ; -- Begin function fft_rtc_back_len192_factors_2_2_3_4_4_wgs_256_tpt_16_dim2_sp_ip_CI_sbcc_twdbase8_3step_dirReg
	.globl	fft_rtc_back_len192_factors_2_2_3_4_4_wgs_256_tpt_16_dim2_sp_ip_CI_sbcc_twdbase8_3step_dirReg
	.p2align	8
	.type	fft_rtc_back_len192_factors_2_2_3_4_4_wgs_256_tpt_16_dim2_sp_ip_CI_sbcc_twdbase8_3step_dirReg,@function
fft_rtc_back_len192_factors_2_2_3_4_4_wgs_256_tpt_16_dim2_sp_ip_CI_sbcc_twdbase8_3step_dirReg: ; @fft_rtc_back_len192_factors_2_2_3_4_4_wgs_256_tpt_16_dim2_sp_ip_CI_sbcc_twdbase8_3step_dirReg
; %bb.0:
	s_load_dwordx4 s[4:7], s[0:1], 0x10
	s_mov_b32 s3, 0
	s_mov_b64 s[16:17], -1
	s_mov_b64 s[18:19], 0
	s_waitcnt lgkmcnt(0)
	s_load_dwordx2 s[14:15], s[4:5], 0x8
	s_load_dwordx2 s[10:11], s[0:1], 0x50
	;; [unrolled: 1-line block ×3, first 2 shown]
	s_waitcnt lgkmcnt(0)
	s_add_u32 s4, s14, -1
	s_addc_u32 s5, s15, -1
	s_lshr_b64 s[4:5], s[4:5], 4
	s_add_u32 s4, s4, 1
	s_addc_u32 s5, s5, 0
	v_mov_b64_e32 v[2:3], s[4:5]
	v_cmp_lt_u64_e32 vcc, s[2:3], v[2:3]
	s_cbranch_vccnz .LBB0_2
; %bb.1:
	v_cvt_f32_u32_e32 v1, s4
	s_sub_i32 s3, 0, s4
	v_rcp_iflag_f32_e32 v1, v1
	s_nop 0
	v_mul_f32_e32 v1, 0x4f7ffffe, v1
	v_cvt_u32_f32_e32 v1, v1
	s_nop 0
	v_readfirstlane_b32 s12, v1
	s_mul_i32 s3, s3, s12
	s_mul_hi_u32 s3, s12, s3
	s_add_i32 s12, s12, s3
	s_mul_hi_u32 s3, s2, s12
	s_mul_i32 s13, s3, s4
	s_sub_i32 s13, s2, s13
	s_add_i32 s12, s3, 1
	s_sub_i32 s18, s13, s4
	s_cmp_ge_u32 s13, s4
	s_cselect_b32 s3, s12, s3
	s_cselect_b32 s13, s18, s13
	s_add_i32 s12, s3, 1
	s_cmp_ge_u32 s13, s4
	s_cselect_b32 s18, s12, s3
.LBB0_2:
	s_mul_i32 s3, s18, s5
	s_mul_hi_u32 s5, s18, s4
	s_add_i32 s5, s5, s3
	s_mul_i32 s3, s18, s4
	s_sub_u32 s2, s2, s3
	s_subb_u32 s3, 0, s5
	s_load_dwordx4 s[4:7], s[6:7], 0x8
	v_mov_b32_e32 v1, s2
	s_lshl_b64 s[20:21], s[2:3], 4
	v_alignbit_b32 v1, s3, v1, 28
	s_load_dwordx2 s[12:13], s[0:1], 0x0
	v_readfirstlane_b32 s2, v1
	s_waitcnt lgkmcnt(0)
	s_mul_i32 s3, s20, s5
	s_mul_hi_u32 s19, s20, s4
	s_mul_i32 s2, s2, s4
	s_add_i32 s3, s19, s3
	s_mul_i32 s7, s7, s18
	s_mul_hi_u32 s19, s6, s18
	s_add_i32 s3, s3, s2
	s_mul_i32 s2, s20, s4
	s_add_i32 s19, s19, s7
	s_mul_i32 s6, s6, s18
	s_add_u32 s6, s6, s2
	s_addc_u32 s7, s19, s3
	s_add_u32 s18, s20, 16
	s_addc_u32 s19, s21, 0
	v_mov_b64_e32 v[2:3], s[14:15]
	v_and_b32_e32 v29, 15, v0
	v_cmp_gt_u64_e32 vcc, s[18:19], v[2:3]
	v_or_b32_e32 v6, s20, v29
	v_mov_b32_e32 v7, s21
	v_cmp_le_u64_e64 s[2:3], s[18:19], v[2:3]
	v_lshrrev_b32_e32 v30, 4, v0
	s_cbranch_vccz .LBB0_8
; %bb.3:
	v_cmp_le_u64_e32 vcc, s[14:15], v[6:7]
                                        ; implicit-def: $vgpr28
                                        ; implicit-def: $vgpr1
                                        ; implicit-def: $vgpr31
                                        ; implicit-def: $vgpr32
                                        ; implicit-def: $vgpr33
	s_and_saveexec_b64 s[16:17], vcc
	s_xor_b64 s[16:17], exec, s[16:17]
; %bb.4:
	v_or_b32_e32 v28, 16, v30
	v_or_b32_e32 v1, 32, v30
	v_or_b32_e32 v31, 48, v30
	v_or_b32_e32 v32, 64, v30
	v_or_b32_e32 v33, 0x50, v30
; %bb.5:
	s_or_saveexec_b64 s[16:17], s[16:17]
                                        ; implicit-def: $vgpr9
                                        ; implicit-def: $vgpr3
                                        ; implicit-def: $vgpr11
                                        ; implicit-def: $vgpr5
                                        ; implicit-def: $vgpr17
                                        ; implicit-def: $vgpr13
                                        ; implicit-def: $vgpr19
                                        ; implicit-def: $vgpr15
                                        ; implicit-def: $vgpr25
                                        ; implicit-def: $vgpr21
                                        ; implicit-def: $vgpr27
                                        ; implicit-def: $vgpr23
	s_xor_b64 exec, exec, s[16:17]
	s_cbranch_execz .LBB0_7
; %bb.6:
	v_mad_u64_u32 v[2:3], s[18:19], s4, v29, 0
	v_mov_b32_e32 v4, v3
	v_mad_u64_u32 v[4:5], s[18:19], s5, v29, v[4:5]
	v_mov_b32_e32 v3, v4
	;; [unrolled: 2-line block ×3, first 2 shown]
	v_mad_u64_u32 v[8:9], s[18:19], s9, v30, v[8:9]
	s_lshl_b64 s[18:19], s[6:7], 3
	s_add_u32 s18, s10, s18
	s_addc_u32 s19, s11, s19
	v_or_b32_e32 v1, 0x60, v30
	v_mov_b32_e32 v5, v8
	v_lshl_add_u64 v[20:21], v[2:3], 3, s[18:19]
	v_mad_u64_u32 v[2:3], s[18:19], s8, v1, 0
	v_lshl_add_u64 v[12:13], v[4:5], 3, v[20:21]
	v_mov_b32_e32 v4, v3
	v_mad_u64_u32 v[4:5], s[18:19], s9, v1, v[4:5]
	v_mov_b32_e32 v3, v4
	v_or_b32_e32 v28, 16, v30
	v_lshl_add_u64 v[14:15], v[2:3], 3, v[20:21]
	v_mad_u64_u32 v[2:3], s[18:19], s8, v28, 0
	v_mov_b32_e32 v4, v3
	v_mad_u64_u32 v[4:5], s[18:19], s9, v28, v[4:5]
	v_mov_b32_e32 v3, v4
	v_or_b32_e32 v1, 0x70, v30
	v_lshl_add_u64 v[16:17], v[2:3], 3, v[20:21]
	v_mad_u64_u32 v[2:3], s[18:19], s8, v1, 0
	v_mov_b32_e32 v4, v3
	v_mad_u64_u32 v[4:5], s[18:19], s9, v1, v[4:5]
	v_mov_b32_e32 v3, v4
	v_or_b32_e32 v1, 32, v30
	v_lshl_add_u64 v[18:19], v[2:3], 3, v[20:21]
	global_load_dwordx2 v[2:3], v[12:13], off
	global_load_dwordx2 v[8:9], v[14:15], off
	global_load_dwordx2 v[4:5], v[16:17], off
	global_load_dwordx2 v[10:11], v[18:19], off
	v_mad_u64_u32 v[12:13], s[18:19], s8, v1, 0
	v_mov_b32_e32 v14, v13
	v_mad_u64_u32 v[14:15], s[18:19], s9, v1, v[14:15]
	v_mov_b32_e32 v13, v14
	v_or_b32_e32 v15, 0x80, v30
	v_lshl_add_u64 v[22:23], v[12:13], 3, v[20:21]
	v_mad_u64_u32 v[12:13], s[18:19], s8, v15, 0
	v_mov_b32_e32 v14, v13
	v_mad_u64_u32 v[14:15], s[18:19], s9, v15, v[14:15]
	v_mov_b32_e32 v13, v14
	v_or_b32_e32 v31, 48, v30
	v_lshl_add_u64 v[24:25], v[12:13], 3, v[20:21]
	;; [unrolled: 6-line block ×3, first 2 shown]
	v_mad_u64_u32 v[12:13], s[18:19], s8, v15, 0
	v_mov_b32_e32 v14, v13
	v_mad_u64_u32 v[14:15], s[18:19], s9, v15, v[14:15]
	v_mov_b32_e32 v13, v14
	v_lshl_add_u64 v[32:33], v[12:13], 3, v[20:21]
	global_load_dwordx2 v[12:13], v[22:23], off
	global_load_dwordx2 v[16:17], v[24:25], off
	;; [unrolled: 1-line block ×4, first 2 shown]
	v_or_b32_e32 v32, 64, v30
	v_mad_u64_u32 v[22:23], s[18:19], s8, v32, 0
	v_mov_b32_e32 v24, v23
	v_mad_u64_u32 v[24:25], s[18:19], s9, v32, v[24:25]
	v_mov_b32_e32 v23, v24
	v_or_b32_e32 v25, 0xa0, v30
	v_lshl_add_u64 v[34:35], v[22:23], 3, v[20:21]
	v_mad_u64_u32 v[22:23], s[18:19], s8, v25, 0
	v_mov_b32_e32 v24, v23
	v_mad_u64_u32 v[24:25], s[18:19], s9, v25, v[24:25]
	v_mov_b32_e32 v23, v24
	v_or_b32_e32 v33, 0x50, v30
	v_lshl_add_u64 v[36:37], v[22:23], 3, v[20:21]
	v_mad_u64_u32 v[22:23], s[18:19], s8, v33, 0
	v_mov_b32_e32 v24, v23
	v_mad_u64_u32 v[24:25], s[18:19], s9, v33, v[24:25]
	v_mov_b32_e32 v23, v24
	v_or_b32_e32 v25, 0xb0, v30
	v_lshl_add_u64 v[38:39], v[22:23], 3, v[20:21]
	v_mad_u64_u32 v[22:23], s[18:19], s8, v25, 0
	v_mov_b32_e32 v24, v23
	v_mad_u64_u32 v[24:25], s[18:19], s9, v25, v[24:25]
	v_mov_b32_e32 v23, v24
	v_lshl_add_u64 v[40:41], v[22:23], 3, v[20:21]
	global_load_dwordx2 v[20:21], v[34:35], off
	global_load_dwordx2 v[24:25], v[36:37], off
	;; [unrolled: 1-line block ×4, first 2 shown]
.LBB0_7:
	s_or_b64 exec, exec, s[16:17]
	s_cbranch_execz .LBB0_9
	s_branch .LBB0_10
.LBB0_8:
                                        ; implicit-def: $vgpr9
                                        ; implicit-def: $vgpr3
                                        ; implicit-def: $vgpr11
                                        ; implicit-def: $vgpr5
                                        ; implicit-def: $vgpr17
                                        ; implicit-def: $vgpr13
                                        ; implicit-def: $vgpr19
                                        ; implicit-def: $vgpr15
                                        ; implicit-def: $vgpr25
                                        ; implicit-def: $vgpr21
                                        ; implicit-def: $vgpr27
                                        ; implicit-def: $vgpr23
                                        ; implicit-def: $vgpr28
                                        ; implicit-def: $vgpr1
                                        ; implicit-def: $vgpr31
                                        ; implicit-def: $vgpr32
                                        ; implicit-def: $vgpr33
	s_andn2_b64 vcc, exec, s[16:17]
	s_cbranch_vccnz .LBB0_10
.LBB0_9:
	s_waitcnt vmcnt(11)
	v_mad_u64_u32 v[2:3], s[16:17], s4, v29, 0
	s_waitcnt vmcnt(9)
	v_mov_b32_e32 v4, v3
	v_mad_u64_u32 v[4:5], s[16:17], s5, v29, v[4:5]
	v_mov_b32_e32 v3, v4
	v_mad_u64_u32 v[4:5], s[16:17], s8, v30, 0
	;; [unrolled: 2-line block ×3, first 2 shown]
	s_lshl_b64 s[16:17], s[6:7], 3
	s_add_u32 s16, s10, s16
	s_addc_u32 s17, s11, s17
	v_or_b32_e32 v1, 0x60, v30
	v_mov_b32_e32 v5, v8
	s_waitcnt vmcnt(3)
	v_lshl_add_u64 v[20:21], v[2:3], 3, s[16:17]
	v_mad_u64_u32 v[2:3], s[16:17], s8, v1, 0
	v_lshl_add_u64 v[12:13], v[4:5], 3, v[20:21]
	v_mov_b32_e32 v4, v3
	v_mad_u64_u32 v[4:5], s[16:17], s9, v1, v[4:5]
	v_mov_b32_e32 v3, v4
	v_or_b32_e32 v28, 16, v30
	v_lshl_add_u64 v[14:15], v[2:3], 3, v[20:21]
	v_mad_u64_u32 v[2:3], s[16:17], s8, v28, 0
	v_mov_b32_e32 v4, v3
	v_mad_u64_u32 v[4:5], s[16:17], s9, v28, v[4:5]
	v_mov_b32_e32 v3, v4
	v_or_b32_e32 v1, 0x70, v30
	v_lshl_add_u64 v[16:17], v[2:3], 3, v[20:21]
	v_mad_u64_u32 v[2:3], s[16:17], s8, v1, 0
	v_mov_b32_e32 v4, v3
	v_mad_u64_u32 v[4:5], s[16:17], s9, v1, v[4:5]
	v_mov_b32_e32 v3, v4
	v_or_b32_e32 v1, 32, v30
	v_lshl_add_u64 v[18:19], v[2:3], 3, v[20:21]
	global_load_dwordx2 v[2:3], v[12:13], off
	global_load_dwordx2 v[8:9], v[14:15], off
	;; [unrolled: 1-line block ×4, first 2 shown]
	v_mad_u64_u32 v[12:13], s[16:17], s8, v1, 0
	v_mov_b32_e32 v14, v13
	v_mad_u64_u32 v[14:15], s[16:17], s9, v1, v[14:15]
	v_mov_b32_e32 v13, v14
	v_or_b32_e32 v15, 0x80, v30
	s_waitcnt vmcnt(5)
	v_lshl_add_u64 v[22:23], v[12:13], 3, v[20:21]
	v_mad_u64_u32 v[12:13], s[16:17], s8, v15, 0
	v_mov_b32_e32 v14, v13
	v_mad_u64_u32 v[14:15], s[16:17], s9, v15, v[14:15]
	v_mov_b32_e32 v13, v14
	v_or_b32_e32 v31, 48, v30
	v_lshl_add_u64 v[24:25], v[12:13], 3, v[20:21]
	v_mad_u64_u32 v[12:13], s[16:17], s8, v31, 0
	v_mov_b32_e32 v14, v13
	v_mad_u64_u32 v[14:15], s[16:17], s9, v31, v[14:15]
	v_mov_b32_e32 v13, v14
	v_or_b32_e32 v15, 0x90, v30
	s_waitcnt vmcnt(4)
	v_lshl_add_u64 v[26:27], v[12:13], 3, v[20:21]
	v_mad_u64_u32 v[12:13], s[16:17], s8, v15, 0
	v_mov_b32_e32 v14, v13
	v_mad_u64_u32 v[14:15], s[16:17], s9, v15, v[14:15]
	v_mov_b32_e32 v13, v14
	v_lshl_add_u64 v[32:33], v[12:13], 3, v[20:21]
	global_load_dwordx2 v[12:13], v[22:23], off
	global_load_dwordx2 v[16:17], v[24:25], off
	;; [unrolled: 1-line block ×4, first 2 shown]
	v_or_b32_e32 v32, 64, v30
	v_mad_u64_u32 v[22:23], s[16:17], s8, v32, 0
	v_mov_b32_e32 v24, v23
	v_mad_u64_u32 v[24:25], s[16:17], s9, v32, v[24:25]
	v_mov_b32_e32 v23, v24
	v_or_b32_e32 v25, 0xa0, v30
	v_lshl_add_u64 v[34:35], v[22:23], 3, v[20:21]
	v_mad_u64_u32 v[22:23], s[16:17], s8, v25, 0
	v_mov_b32_e32 v24, v23
	v_mad_u64_u32 v[24:25], s[16:17], s9, v25, v[24:25]
	v_mov_b32_e32 v23, v24
	v_or_b32_e32 v33, 0x50, v30
	v_lshl_add_u64 v[36:37], v[22:23], 3, v[20:21]
	;; [unrolled: 6-line block ×3, first 2 shown]
	v_mad_u64_u32 v[22:23], s[16:17], s8, v25, 0
	v_mov_b32_e32 v24, v23
	v_mad_u64_u32 v[24:25], s[16:17], s9, v25, v[24:25]
	v_mov_b32_e32 v23, v24
	v_lshl_add_u64 v[40:41], v[22:23], 3, v[20:21]
	global_load_dwordx2 v[20:21], v[34:35], off
	global_load_dwordx2 v[24:25], v[36:37], off
	;; [unrolled: 1-line block ×4, first 2 shown]
.LBB0_10:
	s_waitcnt vmcnt(10)
	v_pk_add_f32 v[34:35], v[2:3], v[8:9] neg_lo:[0,1] neg_hi:[0,1]
	v_lshlrev_b32_e32 v9, 8, v30
	v_lshlrev_b32_e32 v8, 3, v29
	v_add3_u32 v9, 0, v9, v8
	v_pk_fma_f32 v[2:3], v[2:3], 2.0, v[34:35] op_sel_hi:[1,0,1] neg_lo:[0,0,1] neg_hi:[0,0,1]
	s_waitcnt vmcnt(8)
	v_pk_add_f32 v[10:11], v[4:5], v[10:11] neg_lo:[0,1] neg_hi:[0,1]
	ds_write2_b64 v9, v[2:3], v[34:35] offset1:16
	v_lshlrev_b32_e32 v2, 8, v28
	v_add3_u32 v34, 0, v2, v8
	v_pk_fma_f32 v[2:3], v[4:5], 2.0, v[10:11] op_sel_hi:[1,0,1] neg_lo:[0,0,1] neg_hi:[0,0,1]
	s_waitcnt vmcnt(6)
	v_pk_add_f32 v[16:17], v[12:13], v[16:17] neg_lo:[0,1] neg_hi:[0,1]
	ds_write2_b64 v34, v[2:3], v[10:11] offset1:16
	;; [unrolled: 6-line block ×5, first 2 shown]
	v_lshlrev_b32_e32 v2, 8, v33
	v_add3_u32 v11, 0, v2, v8
	v_pk_fma_f32 v[2:3], v[22:23], 2.0, v[26:27] op_sel_hi:[1,0,1] neg_lo:[0,0,1] neg_hi:[0,0,1]
	v_bfe_u32 v12, v0, 4, 1
	ds_write2_b64 v11, v[2:3], v[26:27] offset1:16
	v_lshlrev_b32_e32 v2, 3, v12
	s_waitcnt lgkmcnt(0)
	s_barrier
	global_load_dwordx2 v[2:3], v2, s[12:13]
	v_lshlrev_b32_e32 v13, 7, v30
	v_lshlrev_b32_e32 v16, 1, v30
	;; [unrolled: 1-line block ×3, first 2 shown]
	s_movk_i32 s16, 0xfc
	v_lshlrev_b32_e32 v18, 1, v1
	v_lshlrev_b32_e32 v22, 1, v31
	;; [unrolled: 1-line block ×4, first 2 shown]
	s_movk_i32 s17, 0x1fc
	v_lshlrev_b32_e32 v14, 7, v28
	v_lshlrev_b32_e32 v15, 7, v1
	v_lshlrev_b32_e32 v19, 7, v31
	v_lshlrev_b32_e32 v20, 7, v32
	v_lshlrev_b32_e32 v21, 7, v33
	v_and_or_b32 v25, v16, 28, v12
	v_and_or_b32 v26, v17, s16, v12
	;; [unrolled: 1-line block ×6, first 2 shown]
	v_sub_u32_e32 v16, v9, v13
	v_sub_u32_e32 v18, v34, v14
	;; [unrolled: 1-line block ×6, first 2 shown]
	v_lshlrev_b32_e32 v19, 7, v25
	v_lshlrev_b32_e32 v32, 7, v26
	;; [unrolled: 1-line block ×6, first 2 shown]
	ds_read2st64_b64 v[10:13], v16 offset1:24
	ds_read2st64_b64 v[20:23], v16 offset0:28 offset1:32
	ds_read2st64_b64 v[24:27], v16 offset0:36 offset1:40
	ds_read_b64 v[14:15], v16 offset:22528
	v_add3_u32 v46, 0, v32, v8
	v_add3_u32 v47, 0, v33, v8
	;; [unrolled: 1-line block ×5, first 2 shown]
	ds_read_b64 v[32:33], v4
	ds_read_b64 v[34:35], v17
	;; [unrolled: 1-line block ×4, first 2 shown]
	v_add3_u32 v19, 0, v19, v8
	s_mov_b32 s16, 0x3f5db3d7
	v_cmp_gt_u64_e32 vcc, s[14:15], v[6:7]
	s_or_b64 s[2:3], s[2:3], vcc
	s_waitcnt vmcnt(0) lgkmcnt(4)
	v_pk_mul_f32 v[38:39], v[2:3], v[14:15] op_sel:[0,1]
	s_nop 0
	v_pk_fma_f32 v[42:43], v[2:3], v[14:15], v[38:39] op_sel:[0,0,1] op_sel_hi:[1,1,0]
	v_pk_fma_f32 v[14:15], v[2:3], v[14:15], v[38:39] op_sel:[0,0,1] op_sel_hi:[1,0,0] neg_lo:[1,0,0] neg_hi:[1,0,0]
	s_nop 0
	v_mov_b32_e32 v43, v15
	ds_read_b64 v[14:15], v5
	s_waitcnt lgkmcnt(1)
	v_pk_add_f32 v[38:39], v[40:41], v[42:43] neg_lo:[0,1] neg_hi:[0,1]
	v_pk_mul_f32 v[42:43], v[2:3], v[26:27] op_sel:[0,1]
	v_pk_fma_f32 v[40:41], v[40:41], 2.0, v[38:39] op_sel_hi:[1,0,1] neg_lo:[0,0,1] neg_hi:[0,0,1]
	v_pk_fma_f32 v[44:45], v[2:3], v[26:27], v[42:43] op_sel:[0,0,1] op_sel_hi:[1,1,0]
	v_pk_fma_f32 v[26:27], v[2:3], v[26:27], v[42:43] op_sel:[0,0,1] op_sel_hi:[1,0,0] neg_lo:[1,0,0] neg_hi:[1,0,0]
	v_pk_mul_f32 v[42:43], v[2:3], v[24:25] op_sel:[0,1]
	v_mov_b32_e32 v45, v27
	s_waitcnt lgkmcnt(0)
	v_pk_add_f32 v[26:27], v[14:15], v[44:45] neg_lo:[0,1] neg_hi:[0,1]
	v_pk_fma_f32 v[44:45], v[2:3], v[24:25], v[42:43] op_sel:[0,0,1] op_sel_hi:[1,1,0]
	v_pk_fma_f32 v[24:25], v[2:3], v[24:25], v[42:43] op_sel:[0,0,1] op_sel_hi:[1,0,0] neg_lo:[1,0,0] neg_hi:[1,0,0]
	v_pk_mul_f32 v[42:43], v[2:3], v[22:23] op_sel:[0,1]
	v_mov_b32_e32 v45, v25
	v_pk_add_f32 v[24:25], v[32:33], v[44:45] neg_lo:[0,1] neg_hi:[0,1]
	v_pk_fma_f32 v[44:45], v[2:3], v[22:23], v[42:43] op_sel:[0,0,1] op_sel_hi:[1,1,0]
	v_pk_fma_f32 v[22:23], v[2:3], v[22:23], v[42:43] op_sel:[0,0,1] op_sel_hi:[1,0,0] neg_lo:[1,0,0] neg_hi:[1,0,0]
	v_pk_mul_f32 v[42:43], v[2:3], v[20:21] op_sel:[0,1]
	v_mov_b32_e32 v45, v23
	;; [unrolled: 5-line block ×3, first 2 shown]
	v_pk_add_f32 v[20:21], v[36:37], v[44:45] neg_lo:[0,1] neg_hi:[0,1]
	v_pk_fma_f32 v[44:45], v[2:3], v[12:13], v[42:43] op_sel:[0,0,1] op_sel_hi:[1,1,0]
	v_pk_fma_f32 v[2:3], v[2:3], v[12:13], v[42:43] op_sel:[0,0,1] op_sel_hi:[1,0,0] neg_lo:[1,0,0] neg_hi:[1,0,0]
	v_pk_fma_f32 v[14:15], v[14:15], 2.0, v[26:27] op_sel_hi:[1,0,1] neg_lo:[0,0,1] neg_hi:[0,0,1]
	v_mov_b32_e32 v45, v3
	v_pk_add_f32 v[2:3], v[10:11], v[44:45] neg_lo:[0,1] neg_hi:[0,1]
	v_pk_fma_f32 v[32:33], v[32:33], 2.0, v[24:25] op_sel_hi:[1,0,1] neg_lo:[0,0,1] neg_hi:[0,0,1]
	v_pk_fma_f32 v[10:11], v[10:11], 2.0, v[2:3] op_sel_hi:[1,0,1] neg_lo:[0,0,1] neg_hi:[0,0,1]
	;; [unrolled: 1-line block ×4, first 2 shown]
	s_barrier
	ds_write2_b64 v19, v[10:11], v[2:3] offset1:32
	ds_write2_b64 v46, v[36:37], v[20:21] offset1:32
	;; [unrolled: 1-line block ×6, first 2 shown]
	v_bfe_u32 v2, v0, 4, 2
	v_lshlrev_b32_e32 v3, 4, v2
	s_waitcnt lgkmcnt(0)
	s_barrier
	global_load_dwordx4 v[10:13], v3, s[12:13] offset:16
	ds_read2st64_b64 v[20:23], v16 offset0:24 offset1:28
	ds_read2st64_b64 v[24:27], v16 offset0:40 offset1:44
	v_lshrrev_b32_e32 v3, 6, v0
	v_lshrrev_b32_e32 v9, 2, v28
	v_lshrrev_b32_e32 v14, 2, v1
	v_lshrrev_b32_e32 v15, 2, v31
	v_mul_u32_u24_e32 v3, 12, v3
	v_mul_lo_u32 v9, v9, 12
	v_mul_lo_u32 v14, v14, 12
	;; [unrolled: 1-line block ×3, first 2 shown]
	v_or_b32_e32 v3, v3, v2
	v_or_b32_e32 v9, v9, v2
	;; [unrolled: 1-line block ×4, first 2 shown]
	v_lshlrev_b32_e32 v3, 7, v3
	v_lshlrev_b32_e32 v14, 7, v14
	;; [unrolled: 1-line block ×3, first 2 shown]
	v_add3_u32 v19, 0, v3, v8
	v_add3_u32 v31, 0, v14, v8
	;; [unrolled: 1-line block ×3, first 2 shown]
	ds_read2st64_b64 v[32:35], v16 offset0:32 offset1:36
	ds_read2st64_b64 v[36:39], v16 offset1:20
	ds_read_b64 v[42:43], v5
	ds_read_b64 v[44:45], v4
	v_lshlrev_b32_e32 v9, 7, v9
	v_add3_u32 v9, 0, v9, v8
	s_waitcnt vmcnt(0) lgkmcnt(5)
	v_pk_mul_f32 v[2:3], v[10:11], v[22:23] op_sel:[0,1]
	s_waitcnt lgkmcnt(4)
	v_pk_mul_f32 v[14:15], v[12:13], v[24:25] op_sel:[0,1]
	v_pk_fma_f32 v[40:41], v[10:11], v[22:23], v[2:3] op_sel:[0,0,1] op_sel_hi:[1,1,0]
	v_pk_fma_f32 v[2:3], v[10:11], v[22:23], v[2:3] op_sel:[0,0,1] op_sel_hi:[1,0,0] neg_lo:[1,0,0] neg_hi:[1,0,0]
	v_pk_fma_f32 v[22:23], v[12:13], v[24:25], v[14:15] op_sel:[0,0,1] op_sel_hi:[1,1,0]
	v_pk_fma_f32 v[14:15], v[12:13], v[24:25], v[14:15] op_sel:[0,0,1] op_sel_hi:[1,0,0] neg_lo:[1,0,0] neg_hi:[1,0,0]
	v_pk_mul_f32 v[24:25], v[10:11], v[20:21] op_sel:[0,1]
	v_mov_b32_e32 v41, v3
	v_pk_fma_f32 v[46:47], v[10:11], v[20:21], v[24:25] op_sel:[0,0,1] op_sel_hi:[1,1,0]
	v_pk_fma_f32 v[20:21], v[10:11], v[20:21], v[24:25] op_sel:[0,0,1] op_sel_hi:[1,0,0] neg_lo:[1,0,0] neg_hi:[1,0,0]
	ds_read_b64 v[2:3], v17
	v_mov_b32_e32 v20, v13
	v_mov_b32_e32 v47, v21
	v_pk_mul_f32 v[20:21], v[26:27], v[20:21] op_sel_hi:[1,0]
	s_waitcnt lgkmcnt(3)
	v_pk_mul_f32 v[48:49], v[10:11], v[38:39] op_sel:[0,1]
	v_pk_fma_f32 v[24:25], v[26:27], v[12:13], v[20:21] op_sel:[0,0,1] op_sel_hi:[1,1,0]
	v_pk_fma_f32 v[20:21], v[26:27], v[12:13], v[20:21] op_sel:[0,0,1] op_sel_hi:[1,0,0] neg_lo:[0,0,1] neg_hi:[0,0,1]
	v_pk_fma_f32 v[50:51], v[10:11], v[38:39], v[48:49] op_sel:[0,0,1] op_sel_hi:[1,1,0]
	v_mov_b32_e32 v25, v21
	ds_read_b64 v[20:21], v18
	v_pk_fma_f32 v[38:39], v[10:11], v[38:39], v[48:49] op_sel:[0,0,1] op_sel_hi:[1,0,0] neg_lo:[1,0,0] neg_hi:[1,0,0]
	v_pk_mul_f32 v[48:49], v[12:13], v[34:35] op_sel:[0,1]
	v_mov_b32_e32 v51, v39
	v_pk_fma_f32 v[52:53], v[12:13], v[34:35], v[48:49] op_sel:[0,0,1] op_sel_hi:[1,1,0]
	v_pk_fma_f32 v[34:35], v[12:13], v[34:35], v[48:49] op_sel:[0,0,1] op_sel_hi:[1,0,0] neg_lo:[1,0,0] neg_hi:[1,0,0]
	s_waitcnt lgkmcnt(0)
	v_pk_add_f32 v[38:39], v[20:21], v[50:51]
	v_mov_b32_e32 v53, v35
	v_pk_add_f32 v[34:35], v[38:39], v[52:53]
	v_pk_add_f32 v[38:39], v[50:51], v[52:53]
	v_mov_b32_e32 v23, v15
	v_pk_fma_f32 v[20:21], v[38:39], 0.5, v[20:21] op_sel_hi:[1,0,1] neg_lo:[1,0,0] neg_hi:[1,0,0]
	v_pk_add_f32 v[38:39], v[50:51], v[52:53] neg_lo:[0,1] neg_hi:[0,1]
	s_nop 0
	v_pk_mul_f32 v[38:39], v[38:39], s[16:17] op_sel_hi:[1,0]
	s_barrier
	v_pk_add_f32 v[48:49], v[20:21], v[38:39] op_sel:[0,1] op_sel_hi:[1,0] neg_lo:[0,1] neg_hi:[0,1]
	v_pk_add_f32 v[20:21], v[20:21], v[38:39] op_sel:[0,1] op_sel_hi:[1,0]
	v_pk_mul_f32 v[38:39], v[10:11], v[42:43] op_sel:[0,1]
	s_nop 0
	v_pk_fma_f32 v[50:51], v[10:11], v[42:43], v[38:39] op_sel:[0,0,1] op_sel_hi:[1,1,0]
	v_pk_fma_f32 v[10:11], v[10:11], v[42:43], v[38:39] op_sel:[0,0,1] op_sel_hi:[1,0,0] neg_lo:[1,0,0] neg_hi:[1,0,0]
	v_pk_mul_f32 v[38:39], v[12:13], v[32:33] op_sel:[0,1]
	v_mov_b32_e32 v51, v11
	v_pk_fma_f32 v[42:43], v[12:13], v[32:33], v[38:39] op_sel:[0,0,1] op_sel_hi:[1,1,0]
	v_pk_fma_f32 v[12:13], v[12:13], v[32:33], v[38:39] op_sel:[0,0,1] op_sel_hi:[1,0,0] neg_lo:[1,0,0] neg_hi:[1,0,0]
	v_pk_add_f32 v[10:11], v[36:37], v[50:51]
	v_mov_b32_e32 v43, v13
	v_pk_add_f32 v[12:13], v[50:51], v[42:43]
	v_pk_add_f32 v[32:33], v[50:51], v[42:43] neg_lo:[0,1] neg_hi:[0,1]
	v_pk_fma_f32 v[12:13], v[12:13], 0.5, v[36:37] op_sel_hi:[1,0,1] neg_lo:[1,0,0] neg_hi:[1,0,0]
	v_pk_mul_f32 v[32:33], v[32:33], s[16:17] op_sel_hi:[1,0]
	v_pk_add_f32 v[10:11], v[10:11], v[42:43]
	v_pk_add_f32 v[36:37], v[12:13], v[32:33] op_sel:[0,1] op_sel_hi:[1,0] neg_lo:[0,1] neg_hi:[0,1]
	v_pk_add_f32 v[12:13], v[12:13], v[32:33] op_sel:[0,1] op_sel_hi:[1,0]
	v_mov_b32_e32 v32, v36
	v_mov_b32_e32 v33, v13
	ds_write2st64_b64 v19, v[10:11], v[32:33] offset1:1
	v_mov_b32_e32 v13, v37
	v_mov_b32_e32 v10, v48
	v_mov_b32_e32 v11, v21
	ds_write_b64 v19, v[12:13] offset:1024
	ds_write2st64_b64 v9, v[34:35], v[10:11] offset1:1
	v_pk_add_f32 v[10:11], v[46:47], v[22:23]
	v_pk_add_f32 v[26:27], v[2:3], v[46:47]
	v_pk_fma_f32 v[2:3], v[10:11], 0.5, v[2:3] op_sel_hi:[1,0,1] neg_lo:[1,0,0] neg_hi:[1,0,0]
	v_pk_add_f32 v[10:11], v[46:47], v[22:23] neg_lo:[0,1] neg_hi:[0,1]
	v_pk_add_f32 v[26:27], v[26:27], v[22:23]
	v_pk_mul_f32 v[10:11], v[10:11], s[16:17] op_sel_hi:[1,0]
	v_mov_b32_e32 v21, v49
	v_pk_add_f32 v[12:13], v[2:3], v[10:11] op_sel:[0,1] op_sel_hi:[1,0] neg_lo:[0,1] neg_hi:[0,1]
	v_pk_add_f32 v[2:3], v[2:3], v[10:11] op_sel:[0,1] op_sel_hi:[1,0]
	v_mov_b32_e32 v10, v12
	v_mov_b32_e32 v11, v3
	v_mov_b32_e32 v3, v13
	ds_write_b64 v9, v[20:21] offset:1024
	ds_write2st64_b64 v31, v[26:27], v[10:11] offset1:1
	ds_write_b64 v31, v[2:3] offset:1024
	v_pk_add_f32 v[2:3], v[40:41], v[24:25]
	v_pk_add_f32 v[10:11], v[40:41], v[24:25] neg_lo:[0,1] neg_hi:[0,1]
	v_pk_fma_f32 v[2:3], v[2:3], 0.5, v[44:45] op_sel_hi:[1,0,1] neg_lo:[1,0,0] neg_hi:[1,0,0]
	v_pk_mul_f32 v[10:11], v[10:11], s[16:17] op_sel_hi:[1,0]
	s_movk_i32 s16, 0xab
	v_pk_add_f32 v[12:13], v[2:3], v[10:11] op_sel:[0,1] op_sel_hi:[1,0] neg_lo:[0,1] neg_hi:[0,1]
	v_pk_add_f32 v[2:3], v[2:3], v[10:11] op_sel:[0,1] op_sel_hi:[1,0]
	v_pk_add_f32 v[14:15], v[44:45], v[40:41]
	v_mov_b32_e32 v11, v3
	v_mov_b32_e32 v3, v13
	ds_write_b64 v54, v[2:3] offset:1024
	v_mul_lo_u16_sdwa v2, v1, s16 dst_sel:DWORD dst_unused:UNUSED_PAD src0_sel:BYTE_0 src1_sel:DWORD
	v_lshrrev_b16_e32 v5, 11, v2
	v_mul_lo_u16_e32 v2, 12, v5
	v_mov_b32_e32 v19, 3
	v_sub_u16_e32 v9, v1, v2
	v_pk_add_f32 v[14:15], v[14:15], v[24:25]
	v_mov_b32_e32 v10, v12
	v_mul_u32_u24_sdwa v2, v9, v19 dst_sel:DWORD dst_unused:UNUSED_PAD src0_sel:BYTE_0 src1_sel:DWORD
	ds_write2st64_b64 v54, v[14:15], v[10:11] offset1:1
	v_lshlrev_b32_e32 v14, 3, v2
	s_waitcnt lgkmcnt(0)
	s_barrier
	global_load_dwordx4 v[10:13], v14, s[12:13] offset:80
	global_load_dwordx2 v[2:3], v14, s[12:13] offset:96
	v_mul_lo_u16_sdwa v14, v28, s16 dst_sel:DWORD dst_unused:UNUSED_PAD src0_sel:BYTE_0 src1_sel:DWORD
	v_lshrrev_b16_e32 v31, 11, v14
	v_mul_lo_u16_e32 v14, 12, v31
	v_sub_u16_e32 v46, v28, v14
	v_mul_u32_u24_sdwa v14, v46, v19 dst_sel:DWORD dst_unused:UNUSED_PAD src0_sel:BYTE_0 src1_sel:DWORD
	v_lshlrev_b32_e32 v24, 3, v14
	global_load_dwordx4 v[20:23], v24, s[12:13] offset:80
	global_load_dwordx2 v[14:15], v24, s[12:13] offset:96
	v_mul_lo_u16_e32 v47, 22, v30
	v_mov_b32_e32 v24, 12
	v_mul_lo_u16_sdwa v24, v47, v24 dst_sel:DWORD dst_unused:UNUSED_PAD src0_sel:BYTE_1 src1_sel:DWORD
	v_sub_u16_e32 v48, v30, v24
	v_mul_u32_u24_sdwa v24, v48, v19 dst_sel:DWORD dst_unused:UNUSED_PAD src0_sel:BYTE_0 src1_sel:DWORD
	v_lshlrev_b32_e32 v32, 3, v24
	global_load_dwordx4 v[24:27], v32, s[12:13] offset:80
	global_load_dwordx2 v[44:45], v32, s[12:13] offset:96
	ds_read2st64_b64 v[32:35], v16 offset0:20 offset1:24
	ds_read2st64_b64 v[36:39], v16 offset0:36 offset1:40
	ds_read2st64_b64 v[40:43], v16 offset0:28 offset1:32
	v_mov_b32_e32 v49, 48
	v_mul_u32_u24_sdwa v47, v47, v49 dst_sel:DWORD dst_unused:UNUSED_PAD src0_sel:BYTE_1 src1_sel:DWORD
	v_mul_u32_u24_e32 v31, 48, v31
	v_or_b32_sdwa v58, v47, v48 dst_sel:DWORD dst_unused:UNUSED_PAD src0_sel:DWORD src1_sel:BYTE_0
	v_or_b32_sdwa v31, v31, v46 dst_sel:DWORD dst_unused:UNUSED_PAD src0_sel:DWORD src1_sel:BYTE_0
	ds_read_b64 v[46:47], v16 offset:22528
	v_mul_u32_u24_e32 v5, 48, v5
	v_or_b32_sdwa v5, v5, v9 dst_sel:DWORD dst_unused:UNUSED_PAD src0_sel:DWORD src1_sel:BYTE_0
	s_movk_i32 s16, 0xff
	s_waitcnt vmcnt(5) lgkmcnt(3)
	v_pk_mul_f32 v[48:49], v[32:33], v[10:11] op_sel:[0,1]
	s_nop 0
	v_pk_fma_f32 v[50:51], v[32:33], v[10:11], v[48:49] op_sel:[0,0,1] op_sel_hi:[1,1,0]
	v_pk_fma_f32 v[10:11], v[32:33], v[10:11], v[48:49] op_sel:[0,0,1] op_sel_hi:[1,0,0] neg_lo:[0,0,1] neg_hi:[0,0,1]
	ds_read_b64 v[48:49], v4
	ds_read_b64 v[52:53], v17
	;; [unrolled: 1-line block ×3, first 2 shown]
	v_mov_b32_e32 v10, v13
	v_mov_b32_e32 v51, v11
	s_waitcnt lgkmcnt(4)
	v_pk_mul_f32 v[10:11], v[42:43], v[10:11] op_sel_hi:[1,0]
	s_nop 0
	v_pk_fma_f32 v[32:33], v[42:43], v[12:13], v[10:11] op_sel:[0,0,1] op_sel_hi:[1,1,0]
	v_pk_fma_f32 v[42:43], v[42:43], v[12:13], v[10:11] op_sel:[0,0,1] op_sel_hi:[1,0,0] neg_lo:[0,0,1] neg_hi:[0,0,1]
	s_waitcnt vmcnt(4) lgkmcnt(3)
	v_pk_mul_f32 v[10:11], v[46:47], v[2:3] op_sel:[0,1]
	v_mov_b32_e32 v33, v43
	v_pk_fma_f32 v[56:57], v[46:47], v[2:3], v[10:11] op_sel:[0,0,1] op_sel_hi:[1,1,0]
	v_pk_fma_f32 v[2:3], v[46:47], v[2:3], v[10:11] op_sel:[0,0,1] op_sel_hi:[1,0,0] neg_lo:[0,0,1] neg_hi:[0,0,1]
	ds_read2st64_b64 v[10:13], v16 offset1:16
	v_lshlrev_b32_e32 v2, 7, v58
	v_add3_u32 v58, 0, v2, v8
	v_lshlrev_b32_e32 v2, 7, v31
	v_add3_u32 v31, 0, v2, v8
	v_lshlrev_b32_e32 v2, 7, v5
	v_mov_b32_e32 v57, v3
	v_add3_u32 v5, 0, v2, v8
	s_waitcnt lgkmcnt(2)
	v_pk_add_f32 v[2:3], v[52:53], v[32:33] neg_lo:[0,1] neg_hi:[0,1]
	v_pk_add_f32 v[32:33], v[50:51], v[56:57] neg_lo:[0,1] neg_hi:[0,1]
	s_waitcnt vmcnt(3)
	v_pk_mul_f32 v[46:47], v[22:23], v[40:41] op_sel:[0,1]
	v_pk_fma_f32 v[42:43], v[50:51], 2.0, v[32:33] op_sel_hi:[1,0,1] neg_lo:[0,0,1] neg_hi:[0,0,1]
	v_pk_fma_f32 v[50:51], v[22:23], v[40:41], v[46:47] op_sel:[0,0,1] op_sel_hi:[1,1,0]
	v_pk_fma_f32 v[22:23], v[22:23], v[40:41], v[46:47] op_sel:[0,0,1] op_sel_hi:[1,0,0] neg_lo:[1,0,0] neg_hi:[1,0,0]
	s_waitcnt lgkmcnt(0)
	v_pk_mul_f32 v[40:41], v[20:21], v[12:13] op_sel:[0,1]
	v_mov_b32_e32 v51, v23
	v_pk_fma_f32 v[46:47], v[20:21], v[12:13], v[40:41] op_sel:[0,0,1] op_sel_hi:[1,1,0]
	v_pk_fma_f32 v[12:13], v[20:21], v[12:13], v[40:41] op_sel:[0,0,1] op_sel_hi:[1,0,0] neg_lo:[1,0,0] neg_hi:[1,0,0]
	s_nop 0
	v_mov_b32_e32 v47, v13
	s_waitcnt vmcnt(2)
	v_pk_mul_f32 v[12:13], v[38:39], v[14:15] op_sel:[0,1]
	s_barrier
	v_pk_fma_f32 v[20:21], v[38:39], v[14:15], v[12:13] op_sel:[0,0,1] op_sel_hi:[1,1,0]
	v_pk_fma_f32 v[12:13], v[38:39], v[14:15], v[12:13] op_sel:[0,0,1] op_sel_hi:[1,0,0] neg_lo:[0,0,1] neg_hi:[0,0,1]
	s_waitcnt vmcnt(1)
	v_pk_mul_f32 v[38:39], v[24:25], v[48:49] op_sel:[0,1]
	v_mov_b32_e32 v21, v13
	v_pk_fma_f32 v[40:41], v[24:25], v[48:49], v[38:39] op_sel:[0,0,1] op_sel_hi:[1,1,0]
	v_pk_fma_f32 v[24:25], v[24:25], v[48:49], v[38:39] op_sel:[0,0,1] op_sel_hi:[1,0,0] neg_lo:[1,0,0] neg_hi:[1,0,0]
	v_pk_add_f32 v[12:13], v[54:55], v[50:51] neg_lo:[0,1] neg_hi:[0,1]
	v_mov_b32_e32 v41, v25
	v_pk_mul_f32 v[24:25], v[26:27], v[34:35] op_sel:[0,1]
	v_pk_add_f32 v[20:21], v[46:47], v[20:21] neg_lo:[0,1] neg_hi:[0,1]
	v_pk_fma_f32 v[38:39], v[26:27], v[34:35], v[24:25] op_sel:[0,0,1] op_sel_hi:[1,1,0]
	v_pk_fma_f32 v[24:25], v[26:27], v[34:35], v[24:25] op_sel:[0,0,1] op_sel_hi:[1,0,0] neg_lo:[1,0,0] neg_hi:[1,0,0]
	v_pk_fma_f32 v[14:15], v[54:55], 2.0, v[12:13] op_sel_hi:[1,0,1] neg_lo:[0,0,1] neg_hi:[0,0,1]
	v_mov_b32_e32 v39, v25
	s_waitcnt vmcnt(0)
	v_pk_mul_f32 v[24:25], v[44:45], v[36:37] op_sel:[0,1]
	v_pk_fma_f32 v[22:23], v[46:47], 2.0, v[20:21] op_sel_hi:[1,0,1] neg_lo:[0,0,1] neg_hi:[0,0,1]
	v_pk_fma_f32 v[26:27], v[44:45], v[36:37], v[24:25] op_sel:[0,0,1] op_sel_hi:[1,1,0]
	v_pk_fma_f32 v[24:25], v[44:45], v[36:37], v[24:25] op_sel:[0,0,1] op_sel_hi:[1,0,0] neg_lo:[1,0,0] neg_hi:[1,0,0]
	s_nop 0
	v_mov_b32_e32 v27, v25
	v_pk_add_f32 v[24:25], v[10:11], v[38:39] neg_lo:[0,1] neg_hi:[0,1]
	v_pk_add_f32 v[26:27], v[40:41], v[26:27] neg_lo:[0,1] neg_hi:[0,1]
	v_pk_fma_f32 v[10:11], v[10:11], 2.0, v[24:25] op_sel_hi:[1,0,1] neg_lo:[0,0,1] neg_hi:[0,0,1]
	v_pk_fma_f32 v[34:35], v[40:41], 2.0, v[26:27] op_sel_hi:[1,0,1] neg_lo:[0,0,1] neg_hi:[0,0,1]
	v_pk_add_f32 v[36:37], v[24:25], v[26:27] op_sel:[0,1] op_sel_hi:[1,0]
	v_pk_add_f32 v[26:27], v[24:25], v[26:27] op_sel:[0,1] op_sel_hi:[1,0] neg_lo:[0,1] neg_hi:[0,1]
	v_pk_add_f32 v[34:35], v[10:11], v[34:35] neg_lo:[0,1] neg_hi:[0,1]
	v_mov_b32_e32 v37, v27
	v_pk_fma_f32 v[10:11], v[10:11], 2.0, v[34:35] op_sel_hi:[1,0,1] neg_lo:[0,0,1] neg_hi:[0,0,1]
	v_pk_fma_f32 v[24:25], v[24:25], 2.0, v[36:37] op_sel_hi:[1,0,1] neg_lo:[0,0,1] neg_hi:[0,0,1]
	ds_write2st64_b64 v58, v[10:11], v[24:25] offset1:3
	ds_write2st64_b64 v58, v[34:35], v[36:37] offset0:6 offset1:9
	v_pk_add_f32 v[10:11], v[12:13], v[20:21] op_sel:[0,1] op_sel_hi:[1,0]
	v_pk_add_f32 v[20:21], v[12:13], v[20:21] op_sel:[0,1] op_sel_hi:[1,0] neg_lo:[0,1] neg_hi:[0,1]
	v_pk_add_f32 v[22:23], v[14:15], v[22:23] neg_lo:[0,1] neg_hi:[0,1]
	v_mov_b32_e32 v11, v21
	v_pk_fma_f32 v[14:15], v[14:15], 2.0, v[22:23] op_sel_hi:[1,0,1] neg_lo:[0,0,1] neg_hi:[0,0,1]
	v_pk_fma_f32 v[12:13], v[12:13], 2.0, v[10:11] op_sel_hi:[1,0,1] neg_lo:[0,0,1] neg_hi:[0,0,1]
	;; [unrolled: 1-line block ×3, first 2 shown]
	ds_write2st64_b64 v31, v[14:15], v[12:13] offset1:3
	ds_write2st64_b64 v31, v[22:23], v[10:11] offset0:6 offset1:9
	v_pk_add_f32 v[10:11], v[2:3], v[32:33] op_sel:[0,1] op_sel_hi:[1,0]
	v_pk_add_f32 v[12:13], v[2:3], v[32:33] op_sel:[0,1] op_sel_hi:[1,0] neg_lo:[0,1] neg_hi:[0,1]
	v_pk_add_f32 v[42:43], v[8:9], v[42:43] neg_lo:[0,1] neg_hi:[0,1]
	v_mov_b32_e32 v11, v13
	v_pk_fma_f32 v[8:9], v[8:9], 2.0, v[42:43] op_sel_hi:[1,0,1] neg_lo:[0,0,1] neg_hi:[0,0,1]
	v_pk_fma_f32 v[2:3], v[2:3], 2.0, v[10:11] op_sel_hi:[1,0,1] neg_lo:[0,0,1] neg_hi:[0,0,1]
	ds_write2st64_b64 v5, v[8:9], v[2:3] offset1:3
	ds_write2st64_b64 v5, v[42:43], v[10:11] offset0:6 offset1:9
	s_waitcnt lgkmcnt(0)
	s_barrier
	s_and_saveexec_b64 s[14:15], s[2:3]
	s_cbranch_execz .LBB0_12
; %bb.11:
	s_movk_i32 s2, 0x100
	v_or_b32_e32 v2, -16, v30
	v_cmp_gt_u32_e32 vcc, s2, v0
	s_movk_i32 s2, 0x200
	v_mov_b32_e32 v3, 0
	v_cndmask_b32_e32 v7, v2, v1, vcc
	v_or_b32_e32 v2, 0xffffffe0, v30
	v_cmp_gt_u32_e32 vcc, s2, v0
	s_movk_i32 s2, 0x300
	s_load_dwordx2 s[0:1], s[0:1], 0x8
	v_cndmask_b32_e32 v20, v2, v28, vcc
	v_or_b32_e32 v2, 0xffffffd0, v30
	v_cmp_gt_u32_e32 vcc, s2, v0
	v_add_u32_e32 v5, 0x90, v7
	v_mul_lo_u32 v48, v6, v7
	v_cndmask_b32_e32 v21, v2, v30, vcc
	v_mul_i32_i24_e32 v2, 3, v7
	v_lshl_add_u64 v[8:9], v[2:3], 3, s[12:13]
	v_mul_i32_i24_e32 v2, 3, v20
	v_lshl_add_u64 v[10:11], v[2:3], 3, s[12:13]
	v_mul_i32_i24_e32 v2, 3, v21
	v_lshl_add_u64 v[2:3], v[2:3], 3, s[12:13]
	global_load_dwordx2 v[14:15], v[10:11], off offset:384
	global_load_dwordx2 v[26:27], v[2:3], off offset:384
	ds_read2st64_b64 v[22:25], v16 offset0:36 offset1:40
	v_add_u32_e32 v12, 48, v7
	v_mul_lo_u32 v49, v6, v5
	v_lshlrev_b32_sdwa v5, v19, v48 dst_sel:DWORD dst_unused:UNUSED_PAD src0_sel:DWORD src1_sel:BYTE_0
	v_mul_lo_u32 v50, v6, v12
	v_lshlrev_b32_sdwa v12, v19, v48 dst_sel:DWORD dst_unused:UNUSED_PAD src0_sel:DWORD src1_sel:BYTE_1
	s_waitcnt lgkmcnt(0)
	global_load_dwordx2 v[30:31], v5, s[0:1]
	global_load_dwordx2 v[32:33], v12, s[0:1] offset:2048
	v_lshlrev_b32_sdwa v5, v19, v49 dst_sel:DWORD dst_unused:UNUSED_PAD src0_sel:DWORD src1_sel:BYTE_0
	v_add_u32_e32 v13, 0x90, v20
	v_lshlrev_b32_sdwa v12, v19, v49 dst_sel:DWORD dst_unused:UNUSED_PAD src0_sel:DWORD src1_sel:BYTE_1
	global_load_dwordx2 v[34:35], v5, s[0:1]
	global_load_dwordx2 v[36:37], v12, s[0:1] offset:2048
	v_mul_lo_u32 v51, v6, v13
	v_lshlrev_b32_sdwa v13, v19, v50 dst_sel:DWORD dst_unused:UNUSED_PAD src0_sel:DWORD src1_sel:BYTE_0
	v_lshlrev_b32_sdwa v44, v19, v50 dst_sel:DWORD dst_unused:UNUSED_PAD src0_sel:DWORD src1_sel:BYTE_1
	v_lshlrev_b32_sdwa v5, v19, v51 dst_sel:DWORD dst_unused:UNUSED_PAD src0_sel:DWORD src1_sel:BYTE_0
	v_lshlrev_b32_sdwa v52, v19, v51 dst_sel:DWORD dst_unused:UNUSED_PAD src0_sel:DWORD src1_sel:BYTE_1
	global_load_dwordx2 v[38:39], v13, s[0:1]
	global_load_dwordx2 v[40:41], v44, s[0:1] offset:2048
	global_load_dwordx2 v[42:43], v5, s[0:1]
	v_add_u32_e32 v5, 48, v20
	v_mov_b32_e32 v63, 0x1000
	v_add_u32_e32 v7, 0x60, v7
	s_waitcnt vmcnt(8)
	v_pk_mul_f32 v[44:45], v[24:25], v[14:15] op_sel:[0,1]
	s_waitcnt vmcnt(7)
	v_pk_mul_f32 v[46:47], v[26:27], v[22:23] op_sel:[0,1]
	v_pk_fma_f32 v[12:13], v[24:25], v[14:15], v[44:45] op_sel:[0,0,1] op_sel_hi:[1,1,0]
	v_pk_fma_f32 v[14:15], v[24:25], v[14:15], v[44:45] op_sel:[0,0,1] op_sel_hi:[1,0,0] neg_lo:[0,0,1] neg_hi:[0,0,1]
	v_pk_fma_f32 v[44:45], v[26:27], v[22:23], v[46:47] op_sel:[0,0,1] op_sel_hi:[1,1,0]
	v_pk_fma_f32 v[26:27], v[26:27], v[22:23], v[46:47] op_sel:[0,0,1] op_sel_hi:[1,0,0] neg_lo:[1,0,0] neg_hi:[1,0,0]
	global_load_dwordx2 v[22:23], v52, s[0:1] offset:2048
	v_mul_lo_u32 v46, v6, v5
	v_mul_lo_u32 v13, v6, v20
	s_waitcnt vmcnt(6)
	v_mul_f32_e32 v14, v31, v33
	v_lshlrev_b32_sdwa v5, v19, v13 dst_sel:DWORD dst_unused:UNUSED_PAD src0_sel:DWORD src1_sel:BYTE_0
	v_mul_f32_e32 v47, v30, v33
	s_waitcnt vmcnt(4)
	v_mul_f32_e32 v24, v35, v37
	v_fma_f32 v54, v34, v36, -v24
	v_lshlrev_b32_sdwa v24, v19, v46 dst_sel:DWORD dst_unused:UNUSED_PAD src0_sel:DWORD src1_sel:BYTE_1
	global_load_dwordx2 v[24:25], v24, s[0:1] offset:2048
	v_fma_f32 v52, v30, v32, -v14
	v_lshlrev_b32_sdwa v26, v19, v46 dst_sel:DWORD dst_unused:UNUSED_PAD src0_sel:DWORD src1_sel:BYTE_0
	s_waitcnt vmcnt(3)
	v_mul_f32_e32 v30, v39, v41
	v_mul_f32_e32 v41, v38, v41
	v_fmac_f32_e32 v47, v31, v32
	v_lshlrev_b32_sdwa v14, v19, v13 dst_sel:DWORD dst_unused:UNUSED_PAD src0_sel:DWORD src1_sel:BYTE_1
	v_fma_f32 v38, v38, v40, -v30
	v_fmac_f32_e32 v41, v39, v40
	global_load_dwordx2 v[30:31], v26, s[0:1]
	global_load_dwordx2 v[32:33], v5, s[0:1]
	v_mul_f32_e32 v53, v34, v37
	v_fmac_f32_e32 v53, v35, v36
	v_mov_b32_e32 v45, v27
	v_bfe_u32 v13, v13, 16, 8
	v_lshl_or_b32 v13, v13, 3, v63
	s_waitcnt vmcnt(3)
	v_mul_f32_e32 v5, v43, v23
	v_mul_f32_e32 v39, v42, v23
	v_fma_f32 v40, v42, v22, -v5
	v_fmac_f32_e32 v39, v43, v22
	global_load_dwordx2 v[22:23], v14, s[0:1] offset:2048
	v_add_u32_e32 v5, 0x90, v21
	v_mul_lo_u32 v42, v6, v5
	v_lshlrev_b32_sdwa v14, v19, v42 dst_sel:DWORD dst_unused:UNUSED_PAD src0_sel:DWORD src1_sel:BYTE_1
	s_waitcnt vmcnt(2)
	v_mul_f32_e32 v5, v31, v25
	v_mul_f32_e32 v43, v30, v25
	v_fma_f32 v55, v30, v24, -v5
	v_fmac_f32_e32 v43, v31, v24
	v_lshlrev_b32_sdwa v5, v19, v42 dst_sel:DWORD dst_unused:UNUSED_PAD src0_sel:DWORD src1_sel:BYTE_0
	s_waitcnt vmcnt(0)
	v_mul_f32_e32 v24, v33, v23
	v_mul_f32_e32 v57, v32, v23
	v_fma_f32 v56, v32, v22, -v24
	v_fmac_f32_e32 v57, v33, v22
	global_load_dwordx2 v[22:23], v5, s[0:1]
	global_load_dwordx2 v[24:25], v14, s[0:1] offset:2048
	v_mul_lo_u32 v14, v6, v21
	v_lshlrev_b32_sdwa v26, v19, v14 dst_sel:DWORD dst_unused:UNUSED_PAD src0_sel:DWORD src1_sel:BYTE_1
	s_waitcnt vmcnt(0)
	v_mul_f32_e32 v5, v23, v25
	v_fma_f32 v58, v22, v24, -v5
	v_add_u32_e32 v5, 48, v21
	v_mul_lo_u32 v60, v6, v5
	v_mul_f32_e32 v59, v22, v25
	v_lshlrev_b32_sdwa v5, v19, v60 dst_sel:DWORD dst_unused:UNUSED_PAD src0_sel:DWORD src1_sel:BYTE_0
	v_fmac_f32_e32 v59, v23, v24
	global_load_dwordx2 v[22:23], v5, s[0:1]
	v_lshlrev_b32_sdwa v5, v19, v60 dst_sel:DWORD dst_unused:UNUSED_PAD src0_sel:DWORD src1_sel:BYTE_1
	global_load_dwordx2 v[24:25], v5, s[0:1] offset:2048
	s_waitcnt vmcnt(0)
	v_mul_f32_e32 v5, v23, v25
	v_fma_f32 v61, v22, v24, -v5
	v_mul_f32_e32 v62, v22, v25
	v_lshlrev_b32_sdwa v5, v19, v14 dst_sel:DWORD dst_unused:UNUSED_PAD src0_sel:DWORD src1_sel:BYTE_0
	v_fmac_f32_e32 v62, v23, v24
	global_load_dwordx2 v[22:23], v5, s[0:1]
	global_load_dwordx2 v[24:25], v26, s[0:1] offset:2048
	s_waitcnt vmcnt(0)
	v_mul_f32_e32 v5, v23, v25
	v_mul_f32_e32 v36, v22, v25
	v_fma_f32 v26, v22, v24, -v5
	v_fmac_f32_e32 v36, v23, v24
	global_load_dwordx4 v[22:25], v[2:3], off offset:368
	ds_read_b64 v[4:5], v4
	s_waitcnt vmcnt(0) lgkmcnt(0)
	v_pk_mul_f32 v[2:3], v[22:23], v[4:5] op_sel:[0,1]
	s_nop 0
	v_pk_fma_f32 v[30:31], v[22:23], v[4:5], v[2:3] op_sel:[0,0,1] op_sel_hi:[1,1,0]
	v_pk_fma_f32 v[22:23], v[22:23], v[4:5], v[2:3] op_sel:[0,0,1] op_sel_hi:[1,0,0] neg_lo:[1,0,0] neg_hi:[1,0,0]
	ds_read2st64_b64 v[2:5], v16 offset0:20 offset1:24
	v_mov_b32_e32 v31, v23
	s_waitcnt lgkmcnt(0)
	v_pk_mul_f32 v[32:33], v[24:25], v[4:5] op_sel:[0,1]
	s_nop 0
	v_pk_fma_f32 v[34:35], v[24:25], v[4:5], v[32:33] op_sel:[0,0,1] op_sel_hi:[1,1,0]
	v_pk_fma_f32 v[4:5], v[24:25], v[4:5], v[32:33] op_sel:[0,0,1] op_sel_hi:[1,0,0] neg_lo:[1,0,0] neg_hi:[1,0,0]
	s_nop 0
	v_bfe_u32 v4, v14, 16, 8
	v_lshl_or_b32 v4, v4, 3, v63
	global_load_dwordx2 v[24:25], v4, s[0:1]
	v_mov_b32_e32 v35, v5
	s_waitcnt vmcnt(0)
	v_mul_f32_e32 v4, v36, v25
	v_fma_f32 v64, v24, v26, -v4
	v_add_u32_e32 v4, 0x60, v21
	v_mul_lo_u32 v4, v6, v4
	v_mul_f32_e32 v65, v26, v25
	v_lshlrev_b32_sdwa v14, v19, v4 dst_sel:DWORD dst_unused:UNUSED_PAD src0_sel:DWORD src1_sel:BYTE_0
	v_fmac_f32_e32 v65, v24, v36
	v_lshlrev_b32_sdwa v22, v19, v4 dst_sel:DWORD dst_unused:UNUSED_PAD src0_sel:DWORD src1_sel:BYTE_1
	global_load_dwordx2 v[24:25], v14, s[0:1]
	global_load_dwordx2 v[32:33], v22, s[0:1] offset:2048
	v_bfe_u32 v4, v4, 16, 8
	v_lshl_or_b32 v4, v4, 3, v63
	s_waitcnt vmcnt(0)
	v_mul_f32_e32 v14, v24, v32
	v_fma_f32 v14, -v25, v33, v14
	v_pk_mul_f32 v[24:25], v[24:25], v[32:33] op_sel:[1,0] op_sel_hi:[0,1]
	v_add_f32_e32 v22, v24, v25
	global_load_dwordx2 v[24:25], v4, s[0:1]
	v_pk_add_f32 v[32:33], v[30:31], v[44:45] neg_lo:[0,1] neg_hi:[0,1]
	s_waitcnt vmcnt(0)
	v_mul_f32_e32 v4, v14, v25
	v_fmac_f32_e32 v4, v24, v22
	v_mul_f32_e32 v22, v22, v25
	v_fma_f32 v14, v24, v14, -v22
	ds_read2st64_b64 v[22:25], v16 offset1:16
	v_pk_fma_f32 v[30:31], v[30:31], 2.0, v[32:33] op_sel_hi:[1,0,1] neg_lo:[0,0,1] neg_hi:[0,0,1]
	s_waitcnt lgkmcnt(0)
	v_pk_add_f32 v[26:27], v[22:23], v[34:35] neg_lo:[0,1] neg_hi:[0,1]
	s_nop 0
	v_pk_fma_f32 v[22:23], v[22:23], 2.0, v[26:27] op_sel_hi:[1,0,1] neg_lo:[0,0,1] neg_hi:[0,0,1]
	s_nop 0
	v_pk_add_f32 v[30:31], v[22:23], v[30:31] neg_lo:[0,1] neg_hi:[0,1]
	s_nop 0
	v_pk_mul_f32 v[4:5], v[30:31], v[4:5] op_sel_hi:[1,0]
	s_nop 0
	v_pk_fma_f32 v[34:35], v[30:31], v[14:15], v[4:5] op_sel:[0,0,1] op_sel_hi:[1,1,0]
	v_pk_fma_f32 v[36:37], v[30:31], v[14:15], v[4:5] op_sel:[0,0,1] op_sel_hi:[1,0,0] neg_lo:[0,0,1] neg_hi:[0,0,1]
	v_mad_u64_u32 v[4:5], s[2:3], s4, v29, 0
	v_mov_b32_e32 v14, v5
	v_fma_f32 v35, v23, 2.0, -v31
	v_fma_f32 v36, v22, 2.0, -v30
	v_mad_u64_u32 v[22:23], s[2:3], s5, v29, v[14:15]
	s_movk_i32 s2, 0x2ff
	s_nop 0
	v_cmp_lt_u32_e32 vcc, s2, v0
	v_mov_b32_e32 v14, 0xc0
	v_mov_b32_e32 v5, v22
	v_cndmask_b32_e32 v14, 0, v14, vcc
	v_or_b32_e32 v29, v21, v14
	v_mad_u64_u32 v[22:23], s[2:3], s8, v29, 0
	v_mov_b32_e32 v14, v23
	v_mad_u64_u32 v[30:31], s[2:3], s9, v29, v[14:15]
	s_lshl_b64 s[2:3], s[6:7], 3
	s_add_u32 s2, s10, s2
	v_mul_f32_e32 v14, v36, v65
	s_addc_u32 s3, s11, s3
	v_mov_b32_e32 v23, v30
	v_fma_f32 v31, v35, v64, -v14
	v_mul_f32_e32 v30, v35, v65
	v_lshl_add_u64 v[4:5], v[4:5], 3, s[2:3]
	v_bfe_u32 v14, v49, 16, 8
	v_fmac_f32_e32 v30, v36, v64
	v_lshl_add_u64 v[22:23], v[22:23], 3, v[4:5]
	v_lshl_or_b32 v14, v14, 3, v63
	global_store_dwordx2 v[22:23], v[30:31], off
	global_load_dwordx2 v[22:23], v14, s[0:1]
	v_mov_b32_e32 v35, v37
	s_waitcnt vmcnt(0)
	v_mul_f32_e32 v14, v53, v23
	v_fma_f32 v44, v22, v54, -v14
	v_bfe_u32 v14, v50, 16, 8
	v_mul_f32_e32 v45, v54, v23
	v_lshl_or_b32 v14, v14, 3, v63
	v_fmac_f32_e32 v45, v22, v53
	global_load_dwordx2 v[22:23], v14, s[0:1]
	s_waitcnt vmcnt(0)
	v_mul_f32_e32 v14, v41, v23
	v_fma_f32 v49, v22, v38, -v14
	v_bfe_u32 v14, v48, 16, 8
	v_mul_f32_e32 v50, v38, v23
	v_lshl_or_b32 v14, v14, 3, v63
	v_fmac_f32_e32 v50, v22, v41
	global_load_dwordx2 v[22:23], v14, s[0:1]
	;; [unrolled: 8-line block ×4, first 2 shown]
	s_waitcnt vmcnt(0)
	v_mul_f32_e32 v14, v43, v23
	v_mul_f32_e32 v46, v55, v23
	v_fma_f32 v40, v22, v55, -v14
	v_fmac_f32_e32 v46, v22, v43
	global_load_dwordx2 v[22:23], v13, s[0:1]
	v_bfe_u32 v14, v60, 16, 8
	v_lshl_or_b32 v14, v14, 3, v63
	s_waitcnt vmcnt(0)
	v_mul_f32_e32 v13, v57, v23
	v_fma_f32 v43, v22, v56, -v13
	v_bfe_u32 v13, v42, 16, 8
	v_mul_f32_e32 v51, v56, v23
	v_lshl_or_b32 v13, v13, 3, v63
	v_fmac_f32_e32 v51, v22, v57
	global_load_dwordx2 v[22:23], v13, s[0:1]
	v_mul_lo_u32 v42, v6, v7
	s_waitcnt vmcnt(0)
	v_mul_f32_e32 v13, v59, v23
	v_mul_f32_e32 v30, v58, v23
	v_fma_f32 v13, v22, v58, -v13
	v_fmac_f32_e32 v30, v22, v59
	global_load_dwordx2 v[22:23], v14, s[0:1]
	s_waitcnt vmcnt(0)
	v_mul_f32_e32 v14, v62, v23
	v_fma_f32 v31, v22, v61, -v14
	v_add_u32_e32 v14, 0x60, v20
	v_add_u32_e32 v20, 48, v29
	v_mul_f32_e32 v23, v61, v23
	v_mul_lo_u32 v52, v6, v14
	v_mad_u64_u32 v[6:7], s[2:3], s8, v20, 0
	v_fmac_f32_e32 v23, v22, v62
	v_mov_b32_e32 v14, v7
	v_sub_f32_e32 v22, v27, v32
	v_add_f32_e32 v32, v26, v33
	v_mad_u64_u32 v[20:21], s[2:3], s9, v20, v[14:15]
	v_fma_f32 v26, v26, 2.0, -v32
	v_mov_b32_e32 v7, v20
	v_fma_f32 v14, v27, 2.0, -v22
	v_mul_f32_e32 v20, v26, v23
	v_fma_f32 v21, v14, v31, -v20
	v_mul_f32_e32 v20, v14, v23
	v_fmac_f32_e32 v20, v26, v31
	v_lshl_add_u64 v[6:7], v[6:7], 3, v[4:5]
	global_store_dwordx2 v[6:7], v[20:21], off
	v_lshlrev_b32_sdwa v14, v19, v42 dst_sel:DWORD dst_unused:UNUSED_PAD src0_sel:DWORD src1_sel:BYTE_0
	v_lshlrev_b32_sdwa v23, v19, v42 dst_sel:DWORD dst_unused:UNUSED_PAD src0_sel:DWORD src1_sel:BYTE_1
	global_load_dwordx2 v[6:7], v14, s[0:1]
	global_load_dwordx2 v[20:21], v23, s[0:1] offset:2048
	v_mul_f32_e32 v38, v22, v30
	v_fmac_f32_e32 v38, v32, v13
	s_waitcnt vmcnt(0)
	v_mul_f32_e32 v14, v6, v20
	v_fma_f32 v53, -v7, v21, v14
	v_pk_mul_f32 v[6:7], v[6:7], v[20:21] op_sel:[1,0] op_sel_hi:[0,1]
	v_add_u32_e32 v20, 0x60, v29
	v_mad_u64_u32 v[26:27], s[2:3], s8, v20, 0
	v_mov_b32_e32 v14, v27
	v_mad_u64_u32 v[20:21], s[2:3], s9, v20, v[14:15]
	v_mul_f32_e32 v14, v32, v30
	v_mov_b32_e32 v27, v20
	v_fma_f32 v39, v22, v13, -v14
	global_load_dwordx4 v[20:23], v[10:11], off offset:368
	v_bfe_u32 v10, v42, 16, 8
	v_bfe_u32 v11, v52, 16, 8
	v_lshl_or_b32 v10, v10, 3, v63
	v_lshl_or_b32 v13, v11, 3, v63
	global_load_dwordx2 v[10:11], v10, s[0:1]
	v_add_f32_e32 v37, v6, v7
	v_lshl_add_u64 v[6:7], v[26:27], 3, v[4:5]
	v_add_u32_e32 v26, 0x90, v29
	global_store_dwordx2 v[6:7], v[34:35], off
	v_mad_u64_u32 v[6:7], s[2:3], s8, v26, 0
	v_mov_b32_e32 v14, v7
	ds_read2st64_b64 v[30:33], v16 offset0:28 offset1:32
	v_mad_u64_u32 v[26:27], s[2:3], s9, v26, v[14:15]
	v_mov_b32_e32 v7, v26
	v_lshl_add_u64 v[6:7], v[6:7], 3, v[4:5]
	global_store_dwordx2 v[6:7], v[38:39], off
	v_lshlrev_b32_sdwa v14, v19, v52 dst_sel:DWORD dst_unused:UNUSED_PAD src0_sel:DWORD src1_sel:BYTE_0
	v_lshlrev_b32_sdwa v19, v19, v52 dst_sel:DWORD dst_unused:UNUSED_PAD src0_sel:DWORD src1_sel:BYTE_1
	v_mov_b32_e32 v42, 0x90
	s_waitcnt vmcnt(3)
	v_pk_mul_f32 v[6:7], v[20:21], v[24:25] op_sel:[0,1]
	s_nop 0
	v_pk_fma_f32 v[26:27], v[20:21], v[24:25], v[6:7] op_sel:[0,0,1] op_sel_hi:[1,1,0]
	v_pk_fma_f32 v[6:7], v[20:21], v[24:25], v[6:7] op_sel:[0,0,1] op_sel_hi:[1,0,0] neg_lo:[1,0,0] neg_hi:[1,0,0]
	s_waitcnt lgkmcnt(0)
	v_pk_mul_f32 v[20:21], v[22:23], v[30:31] op_sel:[0,1]
	v_mov_b32_e32 v27, v7
	v_pk_fma_f32 v[24:25], v[22:23], v[30:31], v[20:21] op_sel:[0,0,1] op_sel_hi:[1,1,0]
	v_pk_fma_f32 v[20:21], v[22:23], v[30:31], v[20:21] op_sel:[0,0,1] op_sel_hi:[1,0,0] neg_lo:[1,0,0] neg_hi:[1,0,0]
	global_load_dwordx2 v[22:23], v14, s[0:1]
	global_load_dwordx2 v[30:31], v19, s[0:1] offset:2048
	s_waitcnt vmcnt(4)
	v_mul_f32_e32 v6, v53, v11
	v_mul_f32_e32 v11, v37, v11
	v_fmac_f32_e32 v6, v10, v37
	v_fma_f32 v14, v10, v53, -v11
	global_load_dwordx2 v[10:11], v13, s[0:1]
	s_movk_i32 s0, 0x1ff
	v_cmp_lt_u32_e32 vcc, s0, v0
	v_mov_b32_e32 v25, v21
	s_waitcnt vmcnt(1)
	v_mul_f32_e32 v13, v22, v30
	v_fma_f32 v13, -v23, v31, v13
	v_pk_mul_f32 v[22:23], v[22:23], v[30:31] op_sel:[1,0] op_sel_hi:[0,1]
	v_add_f32_e32 v19, v22, v23
	s_waitcnt vmcnt(0)
	v_mul_f32_e32 v20, v13, v11
	v_mul_f32_e32 v11, v19, v11
	v_fmac_f32_e32 v20, v10, v19
	v_fma_f32 v10, v10, v13, -v11
	v_cndmask_b32_e32 v11, 0, v42, vcc
	v_add_u32_e32 v52, v11, v28
	v_mad_u64_u32 v[22:23], s[0:1], s8, v52, 0
	v_mov_b32_e32 v28, v23
	v_mad_u64_u32 v[28:29], s[0:1], s9, v52, v[28:29]
	v_add_u32_e32 v11, 48, v52
	v_mov_b32_e32 v23, v28
	v_mad_u64_u32 v[28:29], s[0:1], s8, v11, 0
	v_mov_b32_e32 v30, v29
	v_mad_u64_u32 v[30:31], s[0:1], s9, v11, v[30:31]
	v_add_u32_e32 v11, 0x60, v52
	v_mov_b32_e32 v29, v30
	v_mad_u64_u32 v[30:31], s[0:1], s8, v11, 0
	v_mov_b32_e32 v34, v31
	v_mad_u64_u32 v[34:35], s[0:1], s9, v11, v[34:35]
	v_mov_b32_e32 v31, v34
	ds_read_b64 v[34:35], v18
	ds_read_b64 v[18:19], v18
	v_mov_b32_e32 v13, v15
	v_pk_add_f32 v[12:13], v[26:27], v[12:13] neg_lo:[0,1] neg_hi:[0,1]
	v_lshl_add_u64 v[22:23], v[22:23], 3, v[4:5]
	s_waitcnt lgkmcnt(1)
	v_pk_add_f32 v[24:25], v[34:35], v[24:25] neg_lo:[0,1] neg_hi:[0,1]
	v_pk_fma_f32 v[26:27], v[26:27], 2.0, v[12:13] op_sel_hi:[1,0,1] neg_lo:[0,0,1] neg_hi:[0,0,1]
	s_waitcnt lgkmcnt(0)
	v_pk_fma_f32 v[18:19], v[18:19], 2.0, v[24:25] op_sel_hi:[1,0,1] neg_lo:[0,0,1] neg_hi:[0,0,1]
	v_sub_f32_e32 v7, v25, v12
	v_pk_add_f32 v[26:27], v[18:19], v[26:27] neg_lo:[0,1] neg_hi:[0,1]
	v_lshl_add_u64 v[28:29], v[28:29], 3, v[4:5]
	v_pk_mul_f32 v[20:21], v[26:27], v[20:21] op_sel_hi:[1,0]
	v_fma_f32 v15, v18, 2.0, -v26
	v_pk_fma_f32 v[34:35], v[26:27], v[10:11], v[20:21] op_sel:[0,0,1] op_sel_hi:[1,1,0]
	v_pk_fma_f32 v[20:21], v[26:27], v[10:11], v[20:21] op_sel:[0,0,1] op_sel_hi:[1,0,0] neg_lo:[0,0,1] neg_hi:[0,0,1]
	v_add_f32_e32 v10, v24, v13
	v_mul_f32_e32 v11, v10, v36
	v_mul_f32_e32 v36, v7, v36
	v_fma_f32 v37, v7, v47, -v11
	v_fmac_f32_e32 v36, v10, v47
	v_fma_f32 v7, v25, 2.0, -v7
	v_fma_f32 v10, v24, 2.0, -v10
	v_mul_f32_e32 v11, v10, v46
	v_mul_f32_e32 v24, v7, v46
	v_fma_f32 v25, v7, v40, -v11
	v_fmac_f32_e32 v24, v10, v40
	global_load_dwordx4 v[10:13], v[8:9], off offset:368
	global_load_dwordx2 v[38:39], v[8:9], off offset:384
	v_fma_f32 v7, v19, 2.0, -v27
	v_mul_f32_e32 v8, v15, v51
	v_fma_f32 v9, v7, v43, -v8
	v_mul_f32_e32 v8, v7, v51
	v_fmac_f32_e32 v8, v15, v43
	v_add_u32_e32 v7, 0x90, v52
	ds_read_b64 v[18:19], v17
	ds_read_b64 v[26:27], v16 offset:22528
	ds_read_b64 v[16:17], v17
	global_store_dwordx2 v[22:23], v[8:9], off
	global_store_dwordx2 v[28:29], v[24:25], off
	v_mad_u64_u32 v[8:9], s[0:1], s8, v7, 0
	v_mov_b32_e32 v20, v9
	v_cmp_lt_u32_e32 vcc, s16, v0
	v_mov_b32_e32 v35, v21
	v_mad_u64_u32 v[20:21], s[0:1], s9, v7, v[20:21]
	v_cndmask_b32_e32 v0, 0, v42, vcc
	v_mov_b32_e32 v9, v20
	v_add_u32_e32 v15, v0, v1
	v_lshl_add_u64 v[30:31], v[30:31], 3, v[4:5]
	v_lshl_add_u64 v[8:9], v[8:9], 3, v[4:5]
	v_mad_u64_u32 v[0:1], s[0:1], s8, v15, 0
	global_store_dwordx2 v[30:31], v[34:35], off
	global_store_dwordx2 v[8:9], v[36:37], off
	v_mov_b32_e32 v8, v1
	v_mad_u64_u32 v[8:9], s[0:1], s9, v15, v[8:9]
	v_add_u32_e32 v7, 48, v15
	v_mov_b32_e32 v1, v8
	v_mad_u64_u32 v[8:9], s[0:1], s8, v7, 0
	v_mov_b32_e32 v20, v9
	v_mad_u64_u32 v[20:21], s[0:1], s9, v7, v[20:21]
	v_add_u32_e32 v7, 0x60, v15
	v_mov_b32_e32 v9, v20
	v_mad_u64_u32 v[20:21], s[0:1], s8, v7, 0
	v_mov_b32_e32 v22, v21
	v_mad_u64_u32 v[22:23], s[0:1], s9, v7, v[22:23]
	v_mov_b32_e32 v21, v22
	v_lshl_add_u64 v[0:1], v[0:1], 3, v[4:5]
	v_lshl_add_u64 v[8:9], v[8:9], 3, v[4:5]
	;; [unrolled: 1-line block ×3, first 2 shown]
	s_waitcnt vmcnt(5)
	v_mov_b32_e32 v22, v13
	v_pk_mul_f32 v[22:23], v[32:33], v[22:23] op_sel_hi:[1,0]
	s_nop 0
	v_pk_fma_f32 v[24:25], v[32:33], v[12:13], v[22:23] op_sel:[0,0,1] op_sel_hi:[1,1,0]
	v_pk_fma_f32 v[12:13], v[32:33], v[12:13], v[22:23] op_sel:[0,0,1] op_sel_hi:[1,0,0] neg_lo:[0,0,1] neg_hi:[0,0,1]
	s_nop 0
	v_mov_b32_e32 v25, v13
	s_waitcnt lgkmcnt(0)
	v_pk_add_f32 v[12:13], v[16:17], v[24:25] neg_lo:[0,1] neg_hi:[0,1]
	v_pk_mul_f32 v[16:17], v[2:3], v[10:11] op_sel:[0,1]
	s_nop 0
	v_pk_fma_f32 v[22:23], v[2:3], v[10:11], v[16:17] op_sel:[0,0,1] op_sel_hi:[1,1,0]
	v_pk_fma_f32 v[2:3], v[2:3], v[10:11], v[16:17] op_sel:[0,0,1] op_sel_hi:[1,0,0] neg_lo:[0,0,1] neg_hi:[0,0,1]
	v_pk_fma_f32 v[16:17], v[18:19], 2.0, v[12:13] op_sel_hi:[1,0,1] neg_lo:[0,0,1] neg_hi:[0,0,1]
	v_mov_b32_e32 v23, v3
	s_waitcnt vmcnt(4)
	v_pk_mul_f32 v[2:3], v[26:27], v[38:39] op_sel:[0,1]
	s_nop 0
	v_pk_fma_f32 v[10:11], v[26:27], v[38:39], v[2:3] op_sel:[0,0,1] op_sel_hi:[1,1,0]
	v_pk_fma_f32 v[2:3], v[26:27], v[38:39], v[2:3] op_sel:[0,0,1] op_sel_hi:[1,0,0] neg_lo:[0,0,1] neg_hi:[0,0,1]
	s_nop 0
	v_mov_b32_e32 v11, v3
	v_pk_add_f32 v[2:3], v[22:23], v[10:11] neg_lo:[0,1] neg_hi:[0,1]
	s_nop 0
	v_sub_f32_e32 v24, v13, v2
	v_add_f32_e32 v25, v12, v3
	v_pk_fma_f32 v[2:3], v[22:23], 2.0, v[2:3] op_sel_hi:[1,0,1] neg_lo:[0,0,1] neg_hi:[0,0,1]
	v_mul_f32_e32 v7, v25, v45
	v_pk_add_f32 v[2:3], v[16:17], v[2:3] neg_lo:[0,1] neg_hi:[0,1]
	v_fma_f32 v11, v24, v44, -v7
	v_pk_mul_f32 v[6:7], v[2:3], v[6:7] op_sel_hi:[1,0]
	v_mul_f32_e32 v10, v24, v45
	v_pk_fma_f32 v[18:19], v[2:3], v[14:15], v[6:7] op_sel:[0,0,1] op_sel_hi:[1,1,0]
	v_pk_fma_f32 v[6:7], v[2:3], v[14:15], v[6:7] op_sel:[0,0,1] op_sel_hi:[1,0,0] neg_lo:[0,0,1] neg_hi:[0,0,1]
	v_fma_f32 v14, v12, 2.0, -v25
	v_fma_f32 v6, v13, 2.0, -v24
	v_mul_f32_e32 v12, v14, v50
	v_fma_f32 v13, v6, v49, -v12
	v_mul_f32_e32 v12, v6, v50
	v_fmac_f32_e32 v12, v14, v49
	v_fma_f32 v14, v16, 2.0, -v2
	v_fma_f32 v6, v17, 2.0, -v3
	v_mul_f32_e32 v2, v14, v48
	v_fma_f32 v3, v6, v41, -v2
	v_mul_f32_e32 v2, v6, v48
	v_fmac_f32_e32 v2, v14, v41
	global_store_dwordx2 v[0:1], v[2:3], off
	global_store_dwordx2 v[8:9], v[12:13], off
	v_add_u32_e32 v3, 0x90, v15
	v_mad_u64_u32 v[0:1], s[0:1], s8, v3, 0
	v_mov_b32_e32 v2, v1
	v_mad_u64_u32 v[2:3], s[0:1], s9, v3, v[2:3]
	v_mov_b32_e32 v1, v2
	v_fmac_f32_e32 v10, v25, v44
	v_mov_b32_e32 v19, v7
	v_lshl_add_u64 v[0:1], v[0:1], 3, v[4:5]
	global_store_dwordx2 v[20:21], v[18:19], off
	global_store_dwordx2 v[0:1], v[10:11], off
.LBB0_12:
	s_endpgm
	.section	.rodata,"a",@progbits
	.p2align	6, 0x0
	.amdhsa_kernel fft_rtc_back_len192_factors_2_2_3_4_4_wgs_256_tpt_16_dim2_sp_ip_CI_sbcc_twdbase8_3step_dirReg
		.amdhsa_group_segment_fixed_size 0
		.amdhsa_private_segment_fixed_size 0
		.amdhsa_kernarg_size 88
		.amdhsa_user_sgpr_count 2
		.amdhsa_user_sgpr_dispatch_ptr 0
		.amdhsa_user_sgpr_queue_ptr 0
		.amdhsa_user_sgpr_kernarg_segment_ptr 1
		.amdhsa_user_sgpr_dispatch_id 0
		.amdhsa_user_sgpr_kernarg_preload_length 0
		.amdhsa_user_sgpr_kernarg_preload_offset 0
		.amdhsa_user_sgpr_private_segment_size 0
		.amdhsa_uses_dynamic_stack 0
		.amdhsa_enable_private_segment 0
		.amdhsa_system_sgpr_workgroup_id_x 1
		.amdhsa_system_sgpr_workgroup_id_y 0
		.amdhsa_system_sgpr_workgroup_id_z 0
		.amdhsa_system_sgpr_workgroup_info 0
		.amdhsa_system_vgpr_workitem_id 0
		.amdhsa_next_free_vgpr 66
		.amdhsa_next_free_sgpr 22
		.amdhsa_accum_offset 68
		.amdhsa_reserve_vcc 1
		.amdhsa_float_round_mode_32 0
		.amdhsa_float_round_mode_16_64 0
		.amdhsa_float_denorm_mode_32 3
		.amdhsa_float_denorm_mode_16_64 3
		.amdhsa_dx10_clamp 1
		.amdhsa_ieee_mode 1
		.amdhsa_fp16_overflow 0
		.amdhsa_tg_split 0
		.amdhsa_exception_fp_ieee_invalid_op 0
		.amdhsa_exception_fp_denorm_src 0
		.amdhsa_exception_fp_ieee_div_zero 0
		.amdhsa_exception_fp_ieee_overflow 0
		.amdhsa_exception_fp_ieee_underflow 0
		.amdhsa_exception_fp_ieee_inexact 0
		.amdhsa_exception_int_div_zero 0
	.end_amdhsa_kernel
	.text
.Lfunc_end0:
	.size	fft_rtc_back_len192_factors_2_2_3_4_4_wgs_256_tpt_16_dim2_sp_ip_CI_sbcc_twdbase8_3step_dirReg, .Lfunc_end0-fft_rtc_back_len192_factors_2_2_3_4_4_wgs_256_tpt_16_dim2_sp_ip_CI_sbcc_twdbase8_3step_dirReg
                                        ; -- End function
	.section	.AMDGPU.csdata,"",@progbits
; Kernel info:
; codeLenInByte = 7420
; NumSgprs: 28
; NumVgprs: 66
; NumAgprs: 0
; TotalNumVgprs: 66
; ScratchSize: 0
; MemoryBound: 0
; FloatMode: 240
; IeeeMode: 1
; LDSByteSize: 0 bytes/workgroup (compile time only)
; SGPRBlocks: 3
; VGPRBlocks: 8
; NumSGPRsForWavesPerEU: 28
; NumVGPRsForWavesPerEU: 66
; AccumOffset: 68
; Occupancy: 7
; WaveLimiterHint : 1
; COMPUTE_PGM_RSRC2:SCRATCH_EN: 0
; COMPUTE_PGM_RSRC2:USER_SGPR: 2
; COMPUTE_PGM_RSRC2:TRAP_HANDLER: 0
; COMPUTE_PGM_RSRC2:TGID_X_EN: 1
; COMPUTE_PGM_RSRC2:TGID_Y_EN: 0
; COMPUTE_PGM_RSRC2:TGID_Z_EN: 0
; COMPUTE_PGM_RSRC2:TIDIG_COMP_CNT: 0
; COMPUTE_PGM_RSRC3_GFX90A:ACCUM_OFFSET: 16
; COMPUTE_PGM_RSRC3_GFX90A:TG_SPLIT: 0
	.text
	.p2alignl 6, 3212836864
	.fill 256, 4, 3212836864
	.type	__hip_cuid_a5ca9aeaa7d161bf,@object ; @__hip_cuid_a5ca9aeaa7d161bf
	.section	.bss,"aw",@nobits
	.globl	__hip_cuid_a5ca9aeaa7d161bf
__hip_cuid_a5ca9aeaa7d161bf:
	.byte	0                               ; 0x0
	.size	__hip_cuid_a5ca9aeaa7d161bf, 1

	.ident	"AMD clang version 19.0.0git (https://github.com/RadeonOpenCompute/llvm-project roc-6.4.0 25133 c7fe45cf4b819c5991fe208aaa96edf142730f1d)"
	.section	".note.GNU-stack","",@progbits
	.addrsig
	.addrsig_sym __hip_cuid_a5ca9aeaa7d161bf
	.amdgpu_metadata
---
amdhsa.kernels:
  - .agpr_count:     0
    .args:
      - .actual_access:  read_only
        .address_space:  global
        .offset:         0
        .size:           8
        .value_kind:     global_buffer
      - .address_space:  global
        .offset:         8
        .size:           8
        .value_kind:     global_buffer
      - .actual_access:  read_only
        .address_space:  global
        .offset:         16
        .size:           8
        .value_kind:     global_buffer
      - .actual_access:  read_only
        .address_space:  global
        .offset:         24
        .size:           8
        .value_kind:     global_buffer
      - .offset:         32
        .size:           8
        .value_kind:     by_value
      - .actual_access:  read_only
        .address_space:  global
        .offset:         40
        .size:           8
        .value_kind:     global_buffer
      - .actual_access:  read_only
        .address_space:  global
        .offset:         48
        .size:           8
        .value_kind:     global_buffer
      - .offset:         56
        .size:           4
        .value_kind:     by_value
      - .actual_access:  read_only
        .address_space:  global
        .offset:         64
        .size:           8
        .value_kind:     global_buffer
      - .actual_access:  read_only
        .address_space:  global
        .offset:         72
        .size:           8
        .value_kind:     global_buffer
      - .address_space:  global
        .offset:         80
        .size:           8
        .value_kind:     global_buffer
    .group_segment_fixed_size: 0
    .kernarg_segment_align: 8
    .kernarg_segment_size: 88
    .language:       OpenCL C
    .language_version:
      - 2
      - 0
    .max_flat_workgroup_size: 256
    .name:           fft_rtc_back_len192_factors_2_2_3_4_4_wgs_256_tpt_16_dim2_sp_ip_CI_sbcc_twdbase8_3step_dirReg
    .private_segment_fixed_size: 0
    .sgpr_count:     28
    .sgpr_spill_count: 0
    .symbol:         fft_rtc_back_len192_factors_2_2_3_4_4_wgs_256_tpt_16_dim2_sp_ip_CI_sbcc_twdbase8_3step_dirReg.kd
    .uniform_work_group_size: 1
    .uses_dynamic_stack: false
    .vgpr_count:     66
    .vgpr_spill_count: 0
    .wavefront_size: 64
amdhsa.target:   amdgcn-amd-amdhsa--gfx950
amdhsa.version:
  - 1
  - 2
...

	.end_amdgpu_metadata
